;; amdgpu-corpus repo=ROCm/rocFFT kind=compiled arch=gfx1201 opt=O3
	.text
	.amdgcn_target "amdgcn-amd-amdhsa--gfx1201"
	.amdhsa_code_object_version 6
	.protected	fft_rtc_back_len616_factors_11_7_8_wgs_88_tpt_88_sp_op_CI_CI_unitstride_sbrr_R2C_dirReg ; -- Begin function fft_rtc_back_len616_factors_11_7_8_wgs_88_tpt_88_sp_op_CI_CI_unitstride_sbrr_R2C_dirReg
	.globl	fft_rtc_back_len616_factors_11_7_8_wgs_88_tpt_88_sp_op_CI_CI_unitstride_sbrr_R2C_dirReg
	.p2align	8
	.type	fft_rtc_back_len616_factors_11_7_8_wgs_88_tpt_88_sp_op_CI_CI_unitstride_sbrr_R2C_dirReg,@function
fft_rtc_back_len616_factors_11_7_8_wgs_88_tpt_88_sp_op_CI_CI_unitstride_sbrr_R2C_dirReg: ; @fft_rtc_back_len616_factors_11_7_8_wgs_88_tpt_88_sp_op_CI_CI_unitstride_sbrr_R2C_dirReg
; %bb.0:
	s_clause 0x2
	s_load_b128 s[8:11], s[0:1], 0x0
	s_load_b128 s[4:7], s[0:1], 0x58
	;; [unrolled: 1-line block ×3, first 2 shown]
	v_mul_u32_u24_e32 v1, 0x2e9, v0
	v_mov_b32_e32 v3, 0
	s_delay_alu instid0(VALU_DEP_2) | instskip(NEXT) | instid1(VALU_DEP_1)
	v_lshrrev_b32_e32 v1, 16, v1
	v_add_nc_u32_e32 v5, ttmp9, v1
	v_mov_b32_e32 v1, 0
	v_mov_b32_e32 v2, 0
	;; [unrolled: 1-line block ×3, first 2 shown]
	s_wait_kmcnt 0x0
	v_cmp_lt_u64_e64 s2, s[10:11], 2
	s_delay_alu instid0(VALU_DEP_1)
	s_and_b32 vcc_lo, exec_lo, s2
	s_cbranch_vccnz .LBB0_8
; %bb.1:
	s_load_b64 s[2:3], s[0:1], 0x10
	v_mov_b32_e32 v1, 0
	v_mov_b32_e32 v2, 0
	s_add_nc_u64 s[16:17], s[14:15], 8
	s_add_nc_u64 s[18:19], s[12:13], 8
	s_mov_b64 s[20:21], 1
	s_delay_alu instid0(VALU_DEP_1)
	v_dual_mov_b32 v25, v2 :: v_dual_mov_b32 v24, v1
	s_wait_kmcnt 0x0
	s_add_nc_u64 s[22:23], s[2:3], 8
	s_mov_b32 s3, 0
.LBB0_2:                                ; =>This Inner Loop Header: Depth=1
	s_load_b64 s[24:25], s[22:23], 0x0
                                        ; implicit-def: $vgpr28_vgpr29
	s_mov_b32 s2, exec_lo
	s_wait_kmcnt 0x0
	v_or_b32_e32 v4, s25, v6
	s_delay_alu instid0(VALU_DEP_1)
	v_cmpx_ne_u64_e32 0, v[3:4]
	s_wait_alu 0xfffe
	s_xor_b32 s26, exec_lo, s2
	s_cbranch_execz .LBB0_4
; %bb.3:                                ;   in Loop: Header=BB0_2 Depth=1
	s_cvt_f32_u32 s2, s24
	s_cvt_f32_u32 s27, s25
	s_sub_nc_u64 s[30:31], 0, s[24:25]
	s_wait_alu 0xfffe
	s_delay_alu instid0(SALU_CYCLE_1) | instskip(SKIP_1) | instid1(SALU_CYCLE_2)
	s_fmamk_f32 s2, s27, 0x4f800000, s2
	s_wait_alu 0xfffe
	v_s_rcp_f32 s2, s2
	s_delay_alu instid0(TRANS32_DEP_1) | instskip(SKIP_1) | instid1(SALU_CYCLE_2)
	s_mul_f32 s2, s2, 0x5f7ffffc
	s_wait_alu 0xfffe
	s_mul_f32 s27, s2, 0x2f800000
	s_wait_alu 0xfffe
	s_delay_alu instid0(SALU_CYCLE_2) | instskip(SKIP_1) | instid1(SALU_CYCLE_2)
	s_trunc_f32 s27, s27
	s_wait_alu 0xfffe
	s_fmamk_f32 s2, s27, 0xcf800000, s2
	s_cvt_u32_f32 s29, s27
	s_wait_alu 0xfffe
	s_delay_alu instid0(SALU_CYCLE_1) | instskip(SKIP_1) | instid1(SALU_CYCLE_2)
	s_cvt_u32_f32 s28, s2
	s_wait_alu 0xfffe
	s_mul_u64 s[34:35], s[30:31], s[28:29]
	s_wait_alu 0xfffe
	s_mul_hi_u32 s37, s28, s35
	s_mul_i32 s36, s28, s35
	s_mul_hi_u32 s2, s28, s34
	s_mul_i32 s33, s29, s34
	s_wait_alu 0xfffe
	s_add_nc_u64 s[36:37], s[2:3], s[36:37]
	s_mul_hi_u32 s27, s29, s34
	s_mul_hi_u32 s38, s29, s35
	s_add_co_u32 s2, s36, s33
	s_wait_alu 0xfffe
	s_add_co_ci_u32 s2, s37, s27
	s_mul_i32 s34, s29, s35
	s_add_co_ci_u32 s35, s38, 0
	s_wait_alu 0xfffe
	s_add_nc_u64 s[34:35], s[2:3], s[34:35]
	s_wait_alu 0xfffe
	v_add_co_u32 v4, s2, s28, s34
	s_delay_alu instid0(VALU_DEP_1) | instskip(SKIP_1) | instid1(VALU_DEP_1)
	s_cmp_lg_u32 s2, 0
	s_add_co_ci_u32 s29, s29, s35
	v_readfirstlane_b32 s28, v4
	s_wait_alu 0xfffe
	s_delay_alu instid0(VALU_DEP_1)
	s_mul_u64 s[30:31], s[30:31], s[28:29]
	s_wait_alu 0xfffe
	s_mul_hi_u32 s35, s28, s31
	s_mul_i32 s34, s28, s31
	s_mul_hi_u32 s2, s28, s30
	s_mul_i32 s33, s29, s30
	s_wait_alu 0xfffe
	s_add_nc_u64 s[34:35], s[2:3], s[34:35]
	s_mul_hi_u32 s27, s29, s30
	s_mul_hi_u32 s28, s29, s31
	s_wait_alu 0xfffe
	s_add_co_u32 s2, s34, s33
	s_add_co_ci_u32 s2, s35, s27
	s_mul_i32 s30, s29, s31
	s_add_co_ci_u32 s31, s28, 0
	s_wait_alu 0xfffe
	s_add_nc_u64 s[30:31], s[2:3], s[30:31]
	s_wait_alu 0xfffe
	v_add_co_u32 v4, s2, v4, s30
	s_delay_alu instid0(VALU_DEP_1) | instskip(SKIP_1) | instid1(VALU_DEP_1)
	s_cmp_lg_u32 s2, 0
	s_add_co_ci_u32 s2, s29, s31
	v_mul_hi_u32 v13, v5, v4
	s_wait_alu 0xfffe
	v_mad_co_u64_u32 v[7:8], null, v5, s2, 0
	v_mad_co_u64_u32 v[9:10], null, v6, v4, 0
	;; [unrolled: 1-line block ×3, first 2 shown]
	s_delay_alu instid0(VALU_DEP_3) | instskip(SKIP_1) | instid1(VALU_DEP_4)
	v_add_co_u32 v4, vcc_lo, v13, v7
	s_wait_alu 0xfffd
	v_add_co_ci_u32_e32 v7, vcc_lo, 0, v8, vcc_lo
	s_delay_alu instid0(VALU_DEP_2) | instskip(SKIP_1) | instid1(VALU_DEP_2)
	v_add_co_u32 v4, vcc_lo, v4, v9
	s_wait_alu 0xfffd
	v_add_co_ci_u32_e32 v4, vcc_lo, v7, v10, vcc_lo
	s_wait_alu 0xfffd
	v_add_co_ci_u32_e32 v7, vcc_lo, 0, v12, vcc_lo
	s_delay_alu instid0(VALU_DEP_2) | instskip(SKIP_1) | instid1(VALU_DEP_2)
	v_add_co_u32 v4, vcc_lo, v4, v11
	s_wait_alu 0xfffd
	v_add_co_ci_u32_e32 v9, vcc_lo, 0, v7, vcc_lo
	s_delay_alu instid0(VALU_DEP_2) | instskip(SKIP_1) | instid1(VALU_DEP_3)
	v_mul_lo_u32 v10, s25, v4
	v_mad_co_u64_u32 v[7:8], null, s24, v4, 0
	v_mul_lo_u32 v11, s24, v9
	s_delay_alu instid0(VALU_DEP_2) | instskip(NEXT) | instid1(VALU_DEP_2)
	v_sub_co_u32 v7, vcc_lo, v5, v7
	v_add3_u32 v8, v8, v11, v10
	s_delay_alu instid0(VALU_DEP_1) | instskip(SKIP_1) | instid1(VALU_DEP_1)
	v_sub_nc_u32_e32 v10, v6, v8
	s_wait_alu 0xfffd
	v_subrev_co_ci_u32_e64 v10, s2, s25, v10, vcc_lo
	v_add_co_u32 v11, s2, v4, 2
	s_wait_alu 0xf1ff
	v_add_co_ci_u32_e64 v12, s2, 0, v9, s2
	v_sub_co_u32 v13, s2, v7, s24
	v_sub_co_ci_u32_e32 v8, vcc_lo, v6, v8, vcc_lo
	s_wait_alu 0xf1ff
	v_subrev_co_ci_u32_e64 v10, s2, 0, v10, s2
	s_delay_alu instid0(VALU_DEP_3) | instskip(NEXT) | instid1(VALU_DEP_3)
	v_cmp_le_u32_e32 vcc_lo, s24, v13
	v_cmp_eq_u32_e64 s2, s25, v8
	s_wait_alu 0xfffd
	v_cndmask_b32_e64 v13, 0, -1, vcc_lo
	v_cmp_le_u32_e32 vcc_lo, s25, v10
	s_wait_alu 0xfffd
	v_cndmask_b32_e64 v14, 0, -1, vcc_lo
	v_cmp_le_u32_e32 vcc_lo, s24, v7
	;; [unrolled: 3-line block ×3, first 2 shown]
	s_wait_alu 0xfffd
	v_cndmask_b32_e64 v15, 0, -1, vcc_lo
	v_cmp_eq_u32_e32 vcc_lo, s25, v10
	s_wait_alu 0xf1ff
	s_delay_alu instid0(VALU_DEP_2)
	v_cndmask_b32_e64 v7, v15, v7, s2
	s_wait_alu 0xfffd
	v_cndmask_b32_e32 v10, v14, v13, vcc_lo
	v_add_co_u32 v13, vcc_lo, v4, 1
	s_wait_alu 0xfffd
	v_add_co_ci_u32_e32 v14, vcc_lo, 0, v9, vcc_lo
	s_delay_alu instid0(VALU_DEP_3) | instskip(SKIP_1) | instid1(VALU_DEP_2)
	v_cmp_ne_u32_e32 vcc_lo, 0, v10
	s_wait_alu 0xfffd
	v_cndmask_b32_e32 v8, v14, v12, vcc_lo
	v_cndmask_b32_e32 v10, v13, v11, vcc_lo
	v_cmp_ne_u32_e32 vcc_lo, 0, v7
	s_wait_alu 0xfffd
	s_delay_alu instid0(VALU_DEP_2)
	v_dual_cndmask_b32 v29, v9, v8 :: v_dual_cndmask_b32 v28, v4, v10
.LBB0_4:                                ;   in Loop: Header=BB0_2 Depth=1
	s_wait_alu 0xfffe
	s_and_not1_saveexec_b32 s2, s26
	s_cbranch_execz .LBB0_6
; %bb.5:                                ;   in Loop: Header=BB0_2 Depth=1
	v_cvt_f32_u32_e32 v4, s24
	s_sub_co_i32 s26, 0, s24
	v_mov_b32_e32 v29, v3
	s_delay_alu instid0(VALU_DEP_2) | instskip(NEXT) | instid1(TRANS32_DEP_1)
	v_rcp_iflag_f32_e32 v4, v4
	v_mul_f32_e32 v4, 0x4f7ffffe, v4
	s_delay_alu instid0(VALU_DEP_1) | instskip(SKIP_1) | instid1(VALU_DEP_1)
	v_cvt_u32_f32_e32 v4, v4
	s_wait_alu 0xfffe
	v_mul_lo_u32 v7, s26, v4
	s_delay_alu instid0(VALU_DEP_1) | instskip(NEXT) | instid1(VALU_DEP_1)
	v_mul_hi_u32 v7, v4, v7
	v_add_nc_u32_e32 v4, v4, v7
	s_delay_alu instid0(VALU_DEP_1) | instskip(NEXT) | instid1(VALU_DEP_1)
	v_mul_hi_u32 v4, v5, v4
	v_mul_lo_u32 v7, v4, s24
	v_add_nc_u32_e32 v8, 1, v4
	s_delay_alu instid0(VALU_DEP_2) | instskip(NEXT) | instid1(VALU_DEP_1)
	v_sub_nc_u32_e32 v7, v5, v7
	v_subrev_nc_u32_e32 v9, s24, v7
	v_cmp_le_u32_e32 vcc_lo, s24, v7
	s_wait_alu 0xfffd
	s_delay_alu instid0(VALU_DEP_2) | instskip(NEXT) | instid1(VALU_DEP_1)
	v_dual_cndmask_b32 v7, v7, v9 :: v_dual_cndmask_b32 v4, v4, v8
	v_cmp_le_u32_e32 vcc_lo, s24, v7
	s_delay_alu instid0(VALU_DEP_2) | instskip(SKIP_1) | instid1(VALU_DEP_1)
	v_add_nc_u32_e32 v8, 1, v4
	s_wait_alu 0xfffd
	v_cndmask_b32_e32 v28, v4, v8, vcc_lo
.LBB0_6:                                ;   in Loop: Header=BB0_2 Depth=1
	s_wait_alu 0xfffe
	s_or_b32 exec_lo, exec_lo, s2
	v_mul_lo_u32 v4, v29, s24
	s_delay_alu instid0(VALU_DEP_2)
	v_mul_lo_u32 v9, v28, s25
	s_load_b64 s[26:27], s[18:19], 0x0
	v_mad_co_u64_u32 v[7:8], null, v28, s24, 0
	s_load_b64 s[24:25], s[16:17], 0x0
	s_add_nc_u64 s[20:21], s[20:21], 1
	s_add_nc_u64 s[16:17], s[16:17], 8
	s_wait_alu 0xfffe
	v_cmp_ge_u64_e64 s2, s[20:21], s[10:11]
	s_add_nc_u64 s[18:19], s[18:19], 8
	s_add_nc_u64 s[22:23], s[22:23], 8
	v_add3_u32 v4, v8, v9, v4
	v_sub_co_u32 v5, vcc_lo, v5, v7
	s_wait_alu 0xfffd
	s_delay_alu instid0(VALU_DEP_2) | instskip(SKIP_2) | instid1(VALU_DEP_1)
	v_sub_co_ci_u32_e32 v4, vcc_lo, v6, v4, vcc_lo
	s_and_b32 vcc_lo, exec_lo, s2
	s_wait_kmcnt 0x0
	v_mul_lo_u32 v6, s26, v4
	v_mul_lo_u32 v7, s27, v5
	v_mad_co_u64_u32 v[1:2], null, s26, v5, v[1:2]
	v_mul_lo_u32 v4, s24, v4
	v_mul_lo_u32 v8, s25, v5
	v_mad_co_u64_u32 v[24:25], null, s24, v5, v[24:25]
	s_delay_alu instid0(VALU_DEP_4) | instskip(NEXT) | instid1(VALU_DEP_2)
	v_add3_u32 v2, v7, v2, v6
	v_add3_u32 v25, v8, v25, v4
	s_wait_alu 0xfffe
	s_cbranch_vccnz .LBB0_9
; %bb.7:                                ;   in Loop: Header=BB0_2 Depth=1
	v_dual_mov_b32 v5, v28 :: v_dual_mov_b32 v6, v29
	s_branch .LBB0_2
.LBB0_8:
	v_dual_mov_b32 v25, v2 :: v_dual_mov_b32 v24, v1
	v_dual_mov_b32 v29, v6 :: v_dual_mov_b32 v28, v5
.LBB0_9:
	s_load_b64 s[0:1], s[0:1], 0x28
	v_mul_hi_u32 v3, 0x2e8ba2f, v0
                                        ; implicit-def: $vgpr26
	s_wait_kmcnt 0x0
	s_delay_alu instid0(VALU_DEP_2) | instskip(SKIP_1) | instid1(VALU_DEP_1)
	v_cmp_gt_u64_e32 vcc_lo, s[0:1], v[28:29]
	v_cmp_le_u64_e64 s0, s[0:1], v[28:29]
	s_and_saveexec_b32 s1, s0
	s_wait_alu 0xfffe
	s_xor_b32 s0, exec_lo, s1
; %bb.10:
	s_delay_alu instid0(VALU_DEP_3) | instskip(NEXT) | instid1(VALU_DEP_1)
	v_mul_u32_u24_e32 v1, 0x58, v3
                                        ; implicit-def: $vgpr3
	v_sub_nc_u32_e32 v26, v0, v1
                                        ; implicit-def: $vgpr0
                                        ; implicit-def: $vgpr1_vgpr2
; %bb.11:
	s_wait_alu 0xfffe
	s_or_saveexec_b32 s1, s0
	s_lshl_b64 s[2:3], s[10:11], 3
	s_wait_alu 0xfffe
	s_xor_b32 exec_lo, exec_lo, s1
	s_cbranch_execz .LBB0_13
; %bb.12:
	s_add_nc_u64 s[10:11], s[12:13], s[2:3]
	v_lshlrev_b64_e32 v[1:2], 3, v[1:2]
	s_load_b64 s[10:11], s[10:11], 0x0
	s_wait_kmcnt 0x0
	v_mul_lo_u32 v6, s11, v28
	v_mul_lo_u32 v7, s10, v29
	v_mad_co_u64_u32 v[4:5], null, s10, v28, 0
	s_delay_alu instid0(VALU_DEP_1) | instskip(SKIP_1) | instid1(VALU_DEP_2)
	v_add3_u32 v5, v5, v7, v6
	v_mul_u32_u24_e32 v6, 0x58, v3
	v_lshlrev_b64_e32 v[3:4], 3, v[4:5]
	s_delay_alu instid0(VALU_DEP_2) | instskip(NEXT) | instid1(VALU_DEP_1)
	v_sub_nc_u32_e32 v26, v0, v6
	v_lshlrev_b32_e32 v14, 3, v26
	s_delay_alu instid0(VALU_DEP_3) | instskip(SKIP_1) | instid1(VALU_DEP_4)
	v_add_co_u32 v0, s0, s4, v3
	s_wait_alu 0xf1ff
	v_add_co_ci_u32_e64 v3, s0, s5, v4, s0
	s_delay_alu instid0(VALU_DEP_2) | instskip(SKIP_1) | instid1(VALU_DEP_2)
	v_add_co_u32 v0, s0, v0, v1
	s_wait_alu 0xf1ff
	v_add_co_ci_u32_e64 v1, s0, v3, v2, s0
	s_delay_alu instid0(VALU_DEP_2) | instskip(SKIP_1) | instid1(VALU_DEP_2)
	v_add_co_u32 v0, s0, v0, v14
	s_wait_alu 0xf1ff
	v_add_co_ci_u32_e64 v1, s0, 0, v1, s0
	s_clause 0x6
	global_load_b64 v[2:3], v[0:1], off
	global_load_b64 v[4:5], v[0:1], off offset:704
	global_load_b64 v[6:7], v[0:1], off offset:1408
	global_load_b64 v[8:9], v[0:1], off offset:2112
	global_load_b64 v[10:11], v[0:1], off offset:2816
	global_load_b64 v[12:13], v[0:1], off offset:3520
	global_load_b64 v[0:1], v[0:1], off offset:4224
	v_add_nc_u32_e32 v14, 0, v14
	s_delay_alu instid0(VALU_DEP_1)
	v_add_nc_u32_e32 v15, 0x400, v14
	v_add_nc_u32_e32 v16, 0x800, v14
	s_wait_loadcnt 0x5
	ds_store_2addr_b64 v14, v[2:3], v[4:5] offset1:88
	s_wait_loadcnt 0x3
	ds_store_2addr_b64 v15, v[6:7], v[8:9] offset0:48 offset1:136
	s_wait_loadcnt 0x1
	ds_store_2addr_b64 v16, v[10:11], v[12:13] offset0:96 offset1:184
	s_wait_loadcnt 0x0
	ds_store_b64 v14, v[0:1] offset:4224
.LBB0_13:
	s_or_b32 exec_lo, exec_lo, s1
	v_lshl_add_u32 v30, v26, 3, 0
	global_wb scope:SCOPE_SE
	s_wait_dscnt 0x0
	s_barrier_signal -1
	s_barrier_wait -1
	global_inv scope:SCOPE_SE
	ds_load_2addr_b64 v[4:7], v30 offset1:56
	ds_load_b64 v[0:1], v30 offset:4480
	v_add_nc_u32_e32 v27, 0x800, v30
	s_add_nc_u64 s[2:3], s[14:15], s[2:3]
	s_mov_b32 s1, exec_lo
	s_wait_dscnt 0x0
	v_sub_f32_e32 v42, v7, v1
	ds_load_2addr_b64 v[20:23], v30 offset0:112 offset1:168
	ds_load_2addr_b64 v[8:11], v27 offset0:192 offset1:248
	v_add_nc_u32_e32 v31, 0x400, v30
	v_dual_add_f32 v49, v1, v7 :: v_dual_add_f32 v32, v0, v6
	v_dual_sub_f32 v39, v6, v0 :: v_dual_mul_f32 v52, 0xbf4178ce, v42
	s_delay_alu instid0(VALU_DEP_2) | instskip(NEXT) | instid1(VALU_DEP_2)
	v_mul_f32_e32 v56, 0xbf27a4f4, v49
	v_fma_f32 v2, 0xbf27a4f4, v32, -v52
	s_wait_dscnt 0x0
	s_delay_alu instid0(VALU_DEP_1)
	v_dual_add_f32 v2, v4, v2 :: v_dual_add_f32 v33, v10, v20
	v_add_f32_e32 v50, v11, v21
	ds_load_2addr_b64 v[16:19], v31 offset0:96 offset1:152
	ds_load_2addr_b64 v[12:15], v27 offset0:80 offset1:136
	v_dual_sub_f32 v34, v20, v10 :: v_dual_sub_f32 v43, v21, v11
	v_dual_add_f32 v51, v9, v23 :: v_dual_sub_f32 v44, v23, v9
	v_fmamk_f32 v3, v39, 0xbf4178ce, v56
	v_dual_add_f32 v35, v8, v22 :: v_dual_sub_f32 v36, v22, v8
	s_delay_alu instid0(VALU_DEP_4) | instskip(NEXT) | instid1(VALU_DEP_4)
	v_mul_f32_e32 v57, 0x3f7d64f0, v43
	v_mul_f32_e32 v58, 0x3f575c64, v51
	s_delay_alu instid0(VALU_DEP_4)
	v_add_f32_e32 v3, v5, v3
	global_wb scope:SCOPE_SE
	s_wait_dscnt 0x0
	s_barrier_signal -1
	v_fma_f32 v40, 0xbe11bafb, v33, -v57
	s_barrier_wait -1
	global_inv scope:SCOPE_SE
	v_mul_f32_e32 v60, 0xbe11bafb, v50
	v_mul_f32_e32 v54, 0xbf0a6770, v44
	v_add_f32_e32 v2, v40, v2
	v_sub_f32_e32 v46, v19, v13
	v_add_f32_e32 v47, v15, v17
	v_sub_f32_e32 v45, v17, v15
	v_dual_add_f32 v37, v14, v16 :: v_dual_sub_f32 v38, v16, v14
	v_fma_f32 v48, 0x3f575c64, v35, -v54
	v_fmamk_f32 v41, v34, 0x3f7d64f0, v60
	s_delay_alu instid0(VALU_DEP_4) | instskip(NEXT) | instid1(VALU_DEP_3)
	v_dual_mul_f32 v53, 0xbe903f40, v45 :: v_dual_add_f32 v40, v12, v18
	v_add_f32_e32 v2, v48, v2
	v_add_f32_e32 v48, v13, v19
	s_delay_alu instid0(VALU_DEP_4) | instskip(NEXT) | instid1(VALU_DEP_4)
	v_add_f32_e32 v3, v41, v3
	v_fma_f32 v62, 0xbf75a155, v37, -v53
	v_sub_f32_e32 v41, v18, v12
	v_fmamk_f32 v55, v36, 0xbf0a6770, v58
	s_delay_alu instid0(VALU_DEP_3) | instskip(NEXT) | instid1(VALU_DEP_2)
	v_dual_mul_f32 v59, 0x3ed4b147, v48 :: v_dual_add_f32 v2, v62, v2
	v_add_f32_e32 v3, v55, v3
	v_mul_f32_e32 v55, 0x3f68dda4, v46
	s_delay_alu instid0(VALU_DEP_1) | instskip(NEXT) | instid1(VALU_DEP_1)
	v_fma_f32 v62, 0x3ed4b147, v40, -v55
	v_dual_mul_f32 v61, 0xbf75a155, v47 :: v_dual_add_f32 v2, v62, v2
	s_delay_alu instid0(VALU_DEP_1) | instskip(NEXT) | instid1(VALU_DEP_1)
	v_fmamk_f32 v63, v38, 0xbe903f40, v61
	v_add_f32_e32 v3, v63, v3
	v_fmamk_f32 v63, v41, 0x3f68dda4, v59
	s_delay_alu instid0(VALU_DEP_1)
	v_add_f32_e32 v3, v63, v3
	v_cmpx_gt_u32_e32 56, v26
	s_cbranch_execz .LBB0_15
; %bb.14:
	v_mul_f32_e32 v80, 0x3f0a6770, v43
	v_mul_f32_e32 v65, 0xbf4178ce, v39
	;; [unrolled: 1-line block ×5, first 2 shown]
	v_fma_f32 v82, 0x3f575c64, v33, -v80
	v_sub_f32_e32 v56, v56, v65
	v_mul_f32_e32 v76, 0xbe903f40, v42
	v_fmac_f32_e32 v80, 0x3f575c64, v33
	v_fmamk_f32 v72, v50, 0x3f575c64, v68
	v_fma_f32 v68, 0x3f575c64, v50, -v68
	v_dual_mul_f32 v77, 0x3f68dda4, v38 :: v_dual_mul_f32 v78, 0x3f68dda4, v41
	v_fma_f32 v79, 0xbf75a155, v32, -v76
	v_mul_f32_e32 v70, 0xbf0a6770, v36
	v_mul_f32_e32 v75, 0x3ed4b147, v40
	v_dual_mul_f32 v81, 0xbf7d64f0, v41 :: v_dual_add_f32 v56, v5, v56
	s_delay_alu instid0(VALU_DEP_3) | instskip(SKIP_2) | instid1(VALU_DEP_3)
	v_dual_add_f32 v79, v4, v79 :: v_dual_sub_f32 v58, v58, v70
	v_add_f32_e32 v54, v69, v54
	v_dual_add_f32 v6, v4, v6 :: v_dual_mul_f32 v69, 0x3ed4b147, v49
	v_add_f32_e32 v79, v82, v79
	v_dual_mul_f32 v71, 0xbf75a155, v37 :: v_dual_fmac_f32 v76, 0xbf75a155, v32
	v_fma_f32 v82, 0xbf27a4f4, v35, -v83
	v_mul_f32_e32 v67, 0x3f7d64f0, v34
	v_fmac_f32_e32 v83, 0xbf27a4f4, v35
	s_delay_alu instid0(VALU_DEP_4) | instskip(SKIP_2) | instid1(VALU_DEP_3)
	v_dual_sub_f32 v59, v59, v78 :: v_dual_add_f32 v76, v4, v76
	v_mul_f32_e32 v62, 0xbe903f40, v39
	v_dual_add_f32 v7, v5, v7 :: v_dual_add_f32 v6, v6, v20
	v_add_f32_e32 v65, v80, v76
	s_delay_alu instid0(VALU_DEP_3) | instskip(SKIP_1) | instid1(VALU_DEP_4)
	v_fmamk_f32 v63, v49, 0xbf75a155, v62
	v_fma_f32 v62, 0xbf75a155, v49, -v62
	v_dual_mul_f32 v76, 0xbe11bafb, v47 :: v_dual_add_f32 v7, v7, v21
	v_add_f32_e32 v6, v6, v22
	s_delay_alu instid0(VALU_DEP_3) | instskip(NEXT) | instid1(VALU_DEP_3)
	v_add_f32_e32 v62, v5, v62
	v_dual_fmamk_f32 v80, v38, 0xbf7d64f0, v76 :: v_dual_add_f32 v7, v7, v23
	s_delay_alu instid0(VALU_DEP_2) | instskip(SKIP_2) | instid1(VALU_DEP_4)
	v_dual_add_f32 v62, v68, v62 :: v_dual_mul_f32 v73, 0xbf4178ce, v36
	v_dual_mul_f32 v64, 0xbf27a4f4, v32 :: v_dual_add_f32 v63, v5, v63
	v_mul_f32_e32 v66, 0xbe11bafb, v33
	v_add_f32_e32 v7, v7, v17
	s_delay_alu instid0(VALU_DEP_4) | instskip(NEXT) | instid1(VALU_DEP_4)
	v_fma_f32 v68, 0xbf27a4f4, v51, -v73
	v_add_f32_e32 v63, v72, v63
	s_delay_alu instid0(VALU_DEP_4) | instskip(NEXT) | instid1(VALU_DEP_3)
	v_dual_add_f32 v57, v66, v57 :: v_dual_mul_f32 v66, 0x3ed4b147, v51
	v_add_f32_e32 v68, v68, v62
	v_fmamk_f32 v72, v51, 0xbf27a4f4, v73
	v_add_f32_e32 v7, v7, v19
	s_delay_alu instid0(VALU_DEP_2) | instskip(SKIP_3) | instid1(VALU_DEP_4)
	v_dual_add_f32 v63, v72, v63 :: v_dual_fmamk_f32 v72, v47, 0x3ed4b147, v77
	v_mul_f32_e32 v74, 0xbe903f40, v38
	v_dual_add_f32 v52, v64, v52 :: v_dual_add_f32 v55, v75, v55
	v_mul_f32_e32 v75, 0xbf68dda4, v42
	v_add_f32_e32 v63, v72, v63
	v_fmamk_f32 v72, v48, 0xbe11bafb, v81
	v_mul_f32_e32 v84, 0x3f68dda4, v45
	v_add_f32_e32 v52, v4, v52
	v_fma_f32 v77, 0x3ed4b147, v47, -v77
	v_fmamk_f32 v78, v32, 0x3ed4b147, v75
	v_add_f32_e32 v63, v72, v63
	v_add_f32_e32 v72, v82, v79
	v_sub_f32_e32 v60, v60, v67
	v_fma_f32 v79, 0x3ed4b147, v37, -v84
	v_dual_mul_f32 v82, 0xbf7d64f0, v46 :: v_dual_add_f32 v67, v83, v65
	v_add_f32_e32 v52, v57, v52
	s_delay_alu instid0(VALU_DEP_4) | instskip(NEXT) | instid1(VALU_DEP_4)
	v_add_f32_e32 v56, v60, v56
	v_add_f32_e32 v72, v79, v72
	s_delay_alu instid0(VALU_DEP_4)
	v_fma_f32 v73, 0xbe11bafb, v40, -v82
	v_fmac_f32_e32 v82, 0xbe11bafb, v40
	v_add_f32_e32 v52, v54, v52
	v_add_f32_e32 v56, v58, v56
	v_sub_f32_e32 v58, v61, v74
	v_dual_add_f32 v62, v73, v72 :: v_dual_mul_f32 v61, 0xbe11bafb, v49
	v_add_f32_e32 v54, v71, v53
	v_add_f32_e32 v68, v77, v68
	s_delay_alu instid0(VALU_DEP_4)
	v_add_f32_e32 v56, v58, v56
	v_fmac_f32_e32 v84, 0x3ed4b147, v37
	v_fmamk_f32 v57, v39, 0x3f7d64f0, v61
	v_mul_f32_e32 v58, 0xbf75a155, v50
	v_dual_add_f32 v52, v54, v52 :: v_dual_mul_f32 v79, 0xbf4178ce, v43
	v_add_f32_e32 v53, v59, v56
	v_mul_f32_e32 v59, 0x3f575c64, v47
	v_dual_add_f32 v60, v84, v67 :: v_dual_add_f32 v57, v5, v57
	v_fma_f32 v72, 0xbe11bafb, v48, -v81
	v_mul_f32_e32 v56, 0xbf7d64f0, v42
	s_delay_alu instid0(VALU_DEP_3) | instskip(SKIP_3) | instid1(VALU_DEP_4)
	v_dual_mul_f32 v81, 0x3f575c64, v49 :: v_dual_add_f32 v64, v82, v60
	v_mul_f32_e32 v73, 0xbf27a4f4, v50
	v_fmamk_f32 v60, v34, 0xbe903f40, v58
	v_mul_f32_e32 v67, 0x3e903f40, v43
	v_fmamk_f32 v83, v39, 0x3f0a6770, v81
	v_add_f32_e32 v52, v55, v52
	v_mul_f32_e32 v84, 0x3ed4b147, v50
	v_add_f32_e32 v54, v60, v57
	v_fmamk_f32 v57, v36, 0xbf68dda4, v66
	v_dual_fmamk_f32 v60, v32, 0xbe11bafb, v56 :: v_dual_add_f32 v83, v5, v83
	v_add_f32_e32 v65, v72, v68
	v_dual_mul_f32 v68, 0x3f68dda4, v44 :: v_dual_fmamk_f32 v85, v34, 0x3f68dda4, v84
	s_delay_alu instid0(VALU_DEP_4) | instskip(NEXT) | instid1(VALU_DEP_4)
	v_dual_add_f32 v54, v57, v54 :: v_dual_fmamk_f32 v57, v38, 0x3f0a6770, v59
	v_dual_add_f32 v55, v4, v60 :: v_dual_fmamk_f32 v60, v33, 0xbf75a155, v67
	s_delay_alu instid0(VALU_DEP_3) | instskip(NEXT) | instid1(VALU_DEP_3)
	v_dual_mul_f32 v70, 0xbf0a6770, v45 :: v_dual_add_f32 v83, v85, v83
	v_dual_add_f32 v54, v57, v54 :: v_dual_mul_f32 v57, 0xbf27a4f4, v48
	s_delay_alu instid0(VALU_DEP_3) | instskip(SKIP_1) | instid1(VALU_DEP_4)
	v_dual_add_f32 v55, v60, v55 :: v_dual_fmamk_f32 v60, v35, 0x3ed4b147, v68
	v_fmamk_f32 v72, v39, 0x3f68dda4, v69
	v_fmamk_f32 v74, v37, 0x3f575c64, v70
	s_delay_alu instid0(VALU_DEP_4) | instskip(SKIP_3) | instid1(VALU_DEP_4)
	v_fmamk_f32 v71, v41, 0x3f4178ce, v57
	v_mul_f32_e32 v47, 0xbf27a4f4, v47
	v_dual_add_f32 v60, v60, v55 :: v_dual_add_f32 v7, v7, v13
	v_mul_f32_e32 v43, 0xbf68dda4, v43
	v_dual_add_f32 v55, v71, v54 :: v_dual_add_f32 v54, v5, v72
	v_mul_f32_e32 v72, 0xbf75a155, v51
	v_mul_f32_e32 v51, 0xbe11bafb, v51
	v_fmamk_f32 v71, v34, 0x3f4178ce, v73
	v_dual_add_f32 v60, v74, v60 :: v_dual_add_f32 v7, v7, v15
	v_dual_add_f32 v6, v6, v16 :: v_dual_fmac_f32 v61, 0xbf7d64f0, v39
	s_delay_alu instid0(VALU_DEP_4) | instskip(SKIP_3) | instid1(VALU_DEP_3)
	v_fmamk_f32 v85, v36, 0x3f7d64f0, v51
	v_mul_f32_e32 v21, 0xbf0a6770, v42
	v_dual_add_f32 v54, v71, v54 :: v_dual_fmamk_f32 v71, v36, 0xbe903f40, v72
	v_fmamk_f32 v20, v33, 0x3ed4b147, v43
	v_dual_add_f32 v42, v85, v83 :: v_dual_fmamk_f32 v23, v32, 0x3f575c64, v21
	v_mul_f32_e32 v74, 0xbf4178ce, v46
	s_delay_alu instid0(VALU_DEP_4) | instskip(SKIP_1) | instid1(VALU_DEP_4)
	v_add_f32_e32 v71, v71, v54
	v_dual_add_f32 v9, v7, v9 :: v_dual_mul_f32 v16, 0xbf75a155, v48
	v_add_f32_e32 v17, v4, v23
	s_delay_alu instid0(VALU_DEP_4) | instskip(SKIP_2) | instid1(VALU_DEP_3)
	v_fmamk_f32 v77, v40, 0xbf27a4f4, v74
	v_mul_f32_e32 v23, 0xbf7d64f0, v44
	v_dual_add_f32 v71, v80, v71 :: v_dual_mul_f32 v80, 0x3f575c64, v48
	v_dual_add_f32 v17, v20, v17 :: v_dual_add_f32 v54, v77, v60
	v_dual_add_f32 v60, v4, v78 :: v_dual_fmamk_f32 v77, v33, 0xbf27a4f4, v79
	v_mul_f32_e32 v78, 0x3e903f40, v44
	s_delay_alu instid0(VALU_DEP_4) | instskip(SKIP_1) | instid1(VALU_DEP_3)
	v_fmamk_f32 v82, v41, 0xbf0a6770, v80
	v_dual_fmamk_f32 v20, v35, 0xbe11bafb, v23 :: v_dual_add_f32 v9, v9, v11
	v_dual_add_f32 v49, v77, v60 :: v_dual_fmamk_f32 v60, v35, 0xbf75a155, v78
	s_delay_alu instid0(VALU_DEP_2) | instskip(NEXT) | instid1(VALU_DEP_3)
	v_dual_fmac_f32 v58, 0x3e903f40, v34 :: v_dual_add_f32 v17, v20, v17
	v_add_f32_e32 v1, v9, v1
	v_add_f32_e32 v9, v5, v61
	s_delay_alu instid0(VALU_DEP_4) | instskip(SKIP_2) | instid1(VALU_DEP_4)
	v_dual_add_f32 v49, v60, v49 :: v_dual_mul_f32 v60, 0x3f0a6770, v46
	v_dual_mul_f32 v77, 0x3f7d64f0, v45 :: v_dual_add_f32 v6, v6, v18
	v_fmac_f32_e32 v69, 0xbf68dda4, v39
	v_dual_mul_f32 v18, 0xbe903f40, v46 :: v_dual_add_f32 v9, v58, v9
	v_fmac_f32_e32 v66, 0x3f68dda4, v36
	v_fmamk_f32 v20, v41, 0x3e903f40, v16
	v_dual_mul_f32 v13, 0xbf4178ce, v45 :: v_dual_add_f32 v6, v6, v12
	v_fmac_f32_e32 v73, 0xbf4178ce, v34
	s_delay_alu instid0(VALU_DEP_4) | instskip(NEXT) | instid1(VALU_DEP_3)
	v_dual_add_f32 v9, v66, v9 :: v_dual_fmamk_f32 v50, v37, 0xbe11bafb, v77
	v_fmamk_f32 v15, v37, 0xbf27a4f4, v13
	s_delay_alu instid0(VALU_DEP_4) | instskip(SKIP_1) | instid1(VALU_DEP_4)
	v_dual_fmamk_f32 v86, v40, 0x3f575c64, v60 :: v_dual_add_f32 v11, v6, v14
	v_fmac_f32_e32 v59, 0xbf0a6770, v38
	v_add_f32_e32 v49, v50, v49
	v_add_f32_e32 v50, v82, v71
	v_dual_add_f32 v12, v15, v17 :: v_dual_fmamk_f32 v15, v40, 0xbf75a155, v18
	s_delay_alu instid0(VALU_DEP_4) | instskip(SKIP_1) | instid1(VALU_DEP_3)
	v_add_f32_e32 v9, v59, v9
	v_dual_fmac_f32 v57, 0xbf4178ce, v41 :: v_dual_add_f32 v8, v11, v8
	v_dual_fmac_f32 v81, 0xbf0a6770, v39 :: v_dual_add_f32 v6, v15, v12
	v_fma_f32 v12, 0xbe11bafb, v32, -v56
	s_delay_alu instid0(VALU_DEP_3) | instskip(SKIP_2) | instid1(VALU_DEP_4)
	v_dual_add_f32 v9, v57, v9 :: v_dual_add_f32 v8, v8, v10
	v_fmac_f32_e32 v84, 0xbf68dda4, v34
	v_fmamk_f32 v71, v38, 0x3f4178ce, v47
	v_add_f32_e32 v11, v4, v12
	v_fma_f32 v12, 0xbf75a155, v33, -v67
	v_fmac_f32_e32 v51, 0xbf7d64f0, v36
	v_fmac_f32_e32 v47, 0xbf4178ce, v38
	v_add_f32_e32 v19, v71, v42
	v_fmac_f32_e32 v76, 0x3f7d64f0, v38
	v_add_f32_e32 v10, v12, v11
	v_add_f32_e32 v12, v5, v69
	;; [unrolled: 1-line block ×3, first 2 shown]
	v_fma_f32 v11, 0x3ed4b147, v35, -v68
	v_fmac_f32_e32 v16, 0xbe903f40, v41
	v_fmac_f32_e32 v80, 0x3f0a6770, v41
	s_delay_alu instid0(VALU_DEP_4) | instskip(SKIP_4) | instid1(VALU_DEP_4)
	v_dual_add_f32 v12, v73, v12 :: v_dual_add_f32 v5, v84, v5
	v_fmac_f32_e32 v72, 0x3e903f40, v36
	v_add_f32_e32 v0, v8, v0
	v_fma_f32 v14, 0xbf27a4f4, v33, -v79
	v_add_f32_e32 v7, v20, v19
	v_dual_add_f32 v5, v51, v5 :: v_dual_add_f32 v12, v72, v12
	v_add_f32_e32 v10, v11, v10
	v_fma_f32 v11, 0x3f575c64, v37, -v70
	v_fma_f32 v15, 0xbf75a155, v40, -v18
	v_mad_u32_u24 v17, 0x50, v26, v30
	s_delay_alu instid0(VALU_DEP_3) | instskip(SKIP_1) | instid1(VALU_DEP_1)
	v_dual_add_f32 v49, v86, v49 :: v_dual_add_f32 v10, v11, v10
	v_fma_f32 v11, 0xbf27a4f4, v40, -v74
	v_add_f32_e32 v8, v11, v10
	v_fma_f32 v10, 0x3ed4b147, v32, -v75
	v_add_f32_e32 v11, v76, v12
	v_fma_f32 v12, 0x3f575c64, v32, -v21
	s_delay_alu instid0(VALU_DEP_3) | instskip(NEXT) | instid1(VALU_DEP_2)
	v_add_f32_e32 v10, v4, v10
	v_add_f32_e32 v4, v4, v12
	v_fma_f32 v12, 0x3ed4b147, v33, -v43
	s_delay_alu instid0(VALU_DEP_3) | instskip(SKIP_1) | instid1(VALU_DEP_3)
	v_add_f32_e32 v10, v14, v10
	v_fma_f32 v14, 0xbf75a155, v35, -v78
	v_add_f32_e32 v4, v12, v4
	v_fma_f32 v12, 0xbe11bafb, v35, -v23
	s_delay_alu instid0(VALU_DEP_3) | instskip(SKIP_1) | instid1(VALU_DEP_3)
	v_add_f32_e32 v10, v14, v10
	v_fma_f32 v14, 0xbe11bafb, v37, -v77
	v_add_f32_e32 v4, v12, v4
	v_fma_f32 v12, 0xbf27a4f4, v37, -v13
	v_fma_f32 v13, 0x3f575c64, v40, -v60
	s_delay_alu instid0(VALU_DEP_4) | instskip(SKIP_1) | instid1(VALU_DEP_4)
	v_add_f32_e32 v10, v14, v10
	v_dual_add_f32 v14, v47, v5 :: v_dual_add_f32 v5, v80, v11
	v_add_f32_e32 v12, v12, v4
	s_delay_alu instid0(VALU_DEP_3) | instskip(NEXT) | instid1(VALU_DEP_2)
	v_add_f32_e32 v4, v13, v10
	v_dual_add_f32 v11, v16, v14 :: v_dual_add_f32 v10, v15, v12
	ds_store_2addr_b64 v17, v[0:1], v[6:7] offset1:1
	ds_store_2addr_b64 v17, v[49:50], v[54:55] offset0:2 offset1:3
	ds_store_2addr_b64 v17, v[52:53], v[64:65] offset0:4 offset1:5
	;; [unrolled: 1-line block ×4, first 2 shown]
	ds_store_b64 v17, v[10:11] offset:80
.LBB0_15:
	s_wait_alu 0xfffe
	s_or_b32 exec_lo, exec_lo, s1
	v_and_b32_e32 v0, 0xff, v26
	s_load_b64 s[2:3], s[2:3], 0x0
	global_wb scope:SCOPE_SE
	s_wait_dscnt 0x0
	s_wait_kmcnt 0x0
	s_barrier_signal -1
	s_barrier_wait -1
	v_mul_lo_u16 v0, 0x75, v0
	global_inv scope:SCOPE_SE
	v_cmp_gt_u32_e64 s0, 0x4d, v26
	v_lshrrev_b16 v0, 8, v0
	s_delay_alu instid0(VALU_DEP_1) | instskip(NEXT) | instid1(VALU_DEP_1)
	v_sub_nc_u16 v1, v26, v0
	v_lshrrev_b16 v1, 1, v1
	s_delay_alu instid0(VALU_DEP_1) | instskip(NEXT) | instid1(VALU_DEP_1)
	v_and_b32_e32 v1, 0x7f, v1
	v_add_nc_u16 v0, v1, v0
	s_delay_alu instid0(VALU_DEP_1) | instskip(NEXT) | instid1(VALU_DEP_1)
	v_lshrrev_b16 v0, 3, v0
	v_mul_lo_u16 v1, v0, 11
	s_delay_alu instid0(VALU_DEP_1) | instskip(NEXT) | instid1(VALU_DEP_1)
	v_sub_nc_u16 v1, v26, v1
	v_and_b32_e32 v35, 0xff, v1
	s_delay_alu instid0(VALU_DEP_1) | instskip(NEXT) | instid1(VALU_DEP_1)
	v_mul_u32_u24_e32 v1, 6, v35
	v_lshlrev_b32_e32 v1, 3, v1
	s_clause 0x2
	global_load_b128 v[4:7], v1, s[8:9]
	global_load_b128 v[8:11], v1, s[8:9] offset:16
	global_load_b128 v[12:15], v1, s[8:9] offset:32
	ds_load_2addr_b64 v[16:19], v30 offset1:88
	ds_load_2addr_b64 v[20:23], v31 offset0:48 offset1:136
	v_and_b32_e32 v36, 0xffff, v0
	ds_load_2addr_b64 v[31:34], v27 offset0:96 offset1:184
	ds_load_b64 v[0:1], v30 offset:4224
	global_wb scope:SCOPE_SE
	s_wait_loadcnt_dscnt 0x0
	s_barrier_signal -1
	s_barrier_wait -1
	v_mul_u32_u24_e32 v27, 0x268, v36
	global_inv scope:SCOPE_SE
	v_dual_mul_f32 v36, v7, v21 :: v_dual_mul_f32 v37, v9, v23
	v_mul_f32_e32 v38, v11, v32
	v_dual_mul_f32 v40, v15, v1 :: v_dual_mul_f32 v9, v9, v22
	s_delay_alu instid0(VALU_DEP_3) | instskip(NEXT) | instid1(VALU_DEP_3)
	v_dual_fmac_f32 v36, v6, v20 :: v_dual_lshlrev_b32 v35, 3, v35
	v_dual_fmac_f32 v37, v8, v22 :: v_dual_fmac_f32 v38, v10, v31
	s_delay_alu instid0(VALU_DEP_3) | instskip(NEXT) | instid1(VALU_DEP_3)
	v_fmac_f32_e32 v40, v14, v0
	v_add3_u32 v27, 0, v27, v35
	v_mul_f32_e32 v35, v5, v19
	v_mul_f32_e32 v5, v5, v18
	s_delay_alu instid0(VALU_DEP_2) | instskip(SKIP_1) | instid1(VALU_DEP_3)
	v_fmac_f32_e32 v35, v4, v18
	v_mul_f32_e32 v39, v13, v34
	v_fma_f32 v4, v4, v19, -v5
	s_delay_alu instid0(VALU_DEP_2) | instskip(SKIP_2) | instid1(VALU_DEP_2)
	v_fmac_f32_e32 v39, v12, v33
	v_mul_f32_e32 v15, v15, v0
	v_mul_f32_e32 v7, v7, v20
	v_fma_f32 v0, v14, v1, -v15
	v_dual_mul_f32 v11, v11, v31 :: v_dual_sub_f32 v14, v38, v37
	v_mul_f32_e32 v13, v13, v33
	s_delay_alu instid0(VALU_DEP_4)
	v_fma_f32 v5, v6, v21, -v7
	v_fma_f32 v6, v8, v23, -v9
	v_add_f32_e32 v9, v4, v0
	v_sub_f32_e32 v0, v4, v0
	v_fma_f32 v1, v10, v32, -v11
	v_sub_f32_e32 v10, v35, v40
	v_fma_f32 v7, v12, v34, -v13
	v_add_f32_e32 v8, v35, v40
	v_add_f32_e32 v4, v36, v39
	v_sub_f32_e32 v12, v36, v39
	s_delay_alu instid0(VALU_DEP_4) | instskip(NEXT) | instid1(VALU_DEP_3)
	v_add_f32_e32 v11, v5, v7
	v_dual_sub_f32 v5, v5, v7 :: v_dual_sub_f32 v18, v4, v8
	s_delay_alu instid0(VALU_DEP_3) | instskip(SKIP_2) | instid1(VALU_DEP_3)
	v_dual_add_f32 v7, v37, v38 :: v_dual_sub_f32 v22, v14, v12
	v_add_f32_e32 v13, v6, v1
	v_dual_sub_f32 v1, v1, v6 :: v_dual_add_f32 v6, v4, v8
	v_sub_f32_e32 v8, v8, v7
	v_sub_f32_e32 v20, v7, v4
	v_add_f32_e32 v4, v14, v12
	v_dual_sub_f32 v14, v10, v14 :: v_dual_add_f32 v15, v11, v9
	v_dual_sub_f32 v12, v12, v10 :: v_dual_sub_f32 v19, v11, v9
	s_delay_alu instid0(VALU_DEP_3) | instskip(SKIP_3) | instid1(VALU_DEP_3)
	v_dual_add_f32 v10, v4, v10 :: v_dual_sub_f32 v9, v9, v13
	v_add_f32_e32 v6, v7, v6
	v_mul_f32_e32 v8, 0x3f4a47b2, v8
	v_sub_f32_e32 v31, v5, v0
	v_dual_sub_f32 v11, v13, v11 :: v_dual_add_f32 v4, v6, v16
	s_delay_alu instid0(VALU_DEP_3) | instskip(NEXT) | instid1(VALU_DEP_3)
	v_dual_add_f32 v7, v13, v15 :: v_dual_fmamk_f32 v16, v20, 0x3d64c772, v8
	v_dual_sub_f32 v23, v1, v5 :: v_dual_mul_f32 v32, 0xbf5ff5aa, v31
	v_add_f32_e32 v21, v1, v5
	s_delay_alu instid0(VALU_DEP_4) | instskip(SKIP_2) | instid1(VALU_DEP_4)
	v_dual_sub_f32 v1, v0, v1 :: v_dual_fmamk_f32 v6, v6, 0xbf955555, v4
	v_mul_f32_e32 v9, 0x3f4a47b2, v9
	v_fma_f32 v8, 0xbf3bfb3b, v18, -v8
	v_dual_add_f32 v0, v21, v0 :: v_dual_mul_f32 v21, 0x3f08b237, v22
	v_dual_mul_f32 v22, 0x3f08b237, v23 :: v_dual_add_f32 v5, v7, v17
	v_mul_f32_e32 v15, 0x3d64c772, v11
	v_fmamk_f32 v11, v11, 0x3d64c772, v9
	v_fma_f32 v9, 0xbf3bfb3b, v19, -v9
	s_delay_alu instid0(VALU_DEP_4) | instskip(SKIP_1) | instid1(VALU_DEP_1)
	v_fmamk_f32 v7, v7, 0xbf955555, v5
	v_mul_f32_e32 v13, 0x3d64c772, v20
	v_fma_f32 v13, 0x3f3bfb3b, v18, -v13
	v_fmamk_f32 v18, v1, 0xbeae86e6, v22
	v_fma_f32 v1, 0x3eae86e6, v1, -v32
	s_delay_alu instid0(VALU_DEP_3) | instskip(SKIP_1) | instid1(VALU_DEP_4)
	v_add_f32_e32 v13, v13, v6
	v_fmamk_f32 v17, v14, 0xbeae86e6, v21
	v_fmac_f32_e32 v18, 0xbee1c552, v0
	s_delay_alu instid0(VALU_DEP_4) | instskip(SKIP_1) | instid1(VALU_DEP_4)
	v_fmac_f32_e32 v1, 0xbee1c552, v0
	v_mul_f32_e32 v23, 0xbf5ff5aa, v12
	v_fmac_f32_e32 v17, 0xbee1c552, v10
	s_delay_alu instid0(VALU_DEP_2) | instskip(SKIP_4) | instid1(VALU_DEP_1)
	v_fma_f32 v20, 0x3eae86e6, v14, -v23
	v_add_f32_e32 v14, v8, v6
	v_fma_f32 v15, 0x3f3bfb3b, v19, -v15
	v_fma_f32 v19, 0xbf5ff5aa, v12, -v21
	;; [unrolled: 1-line block ×3, first 2 shown]
	v_dual_fmac_f32 v19, 0xbee1c552, v10 :: v_dual_fmac_f32 v12, 0xbee1c552, v0
	v_add_f32_e32 v0, v16, v6
	s_delay_alu instid0(VALU_DEP_1)
	v_add_f32_e32 v6, v18, v0
	v_sub_f32_e32 v0, v0, v18
	v_add_f32_e32 v8, v1, v14
	v_sub_f32_e32 v14, v14, v1
	v_dual_fmac_f32 v20, 0xbee1c552, v10 :: v_dual_add_f32 v21, v9, v7
	v_dual_add_f32 v15, v15, v7 :: v_dual_sub_f32 v10, v13, v12
	v_add_f32_e32 v16, v11, v7
	s_delay_alu instid0(VALU_DEP_3) | instskip(NEXT) | instid1(VALU_DEP_3)
	v_dual_add_f32 v12, v12, v13 :: v_dual_sub_f32 v9, v21, v20
	v_add_f32_e32 v11, v19, v15
	v_sub_f32_e32 v13, v15, v19
	s_delay_alu instid0(VALU_DEP_4)
	v_sub_f32_e32 v7, v16, v17
	v_add_f32_e32 v15, v20, v21
	v_add_f32_e32 v1, v17, v16
	ds_store_2addr_b64 v27, v[4:5], v[6:7] offset1:11
	ds_store_2addr_b64 v27, v[8:9], v[10:11] offset0:22 offset1:33
	ds_store_2addr_b64 v27, v[12:13], v[14:15] offset0:44 offset1:55
	ds_store_b64 v27, v[0:1] offset:528
	global_wb scope:SCOPE_SE
	s_wait_dscnt 0x0
	s_barrier_signal -1
	s_barrier_wait -1
	global_inv scope:SCOPE_SE
	s_and_saveexec_b32 s1, s0
	s_cbranch_execz .LBB0_17
; %bb.16:
	v_add_nc_u32_e32 v0, 0x800, v30
	v_add_nc_u32_e32 v1, 0xc00, v30
	ds_load_2addr_b64 v[4:7], v30 offset1:77
	ds_load_2addr_b64 v[8:11], v30 offset0:154 offset1:231
	ds_load_2addr_b64 v[12:15], v0 offset0:52 offset1:129
	;; [unrolled: 1-line block ×3, first 2 shown]
.LBB0_17:
	s_wait_alu 0xfffe
	s_or_b32 exec_lo, exec_lo, s1
	global_wb scope:SCOPE_SE
	s_wait_dscnt 0x0
	s_barrier_signal -1
	s_barrier_wait -1
	global_inv scope:SCOPE_SE
	s_and_saveexec_b32 s1, s0
	s_cbranch_execz .LBB0_19
; %bb.18:
	v_dual_mov_b32 v17, 0 :: v_dual_add_nc_u32 v16, 0xffffffb3, v26
	s_delay_alu instid0(VALU_DEP_1) | instskip(NEXT) | instid1(VALU_DEP_1)
	v_cndmask_b32_e64 v16, v16, v26, s0
	v_mul_i32_i24_e32 v16, 7, v16
	s_delay_alu instid0(VALU_DEP_1) | instskip(NEXT) | instid1(VALU_DEP_1)
	v_lshlrev_b64_e32 v[16:17], 3, v[16:17]
	v_add_co_u32 v35, s0, s8, v16
	s_wait_alu 0xf1ff
	s_delay_alu instid0(VALU_DEP_2)
	v_add_co_ci_u32_e64 v36, s0, s9, v17, s0
	s_clause 0x3
	global_load_b128 v[16:19], v[35:36], off offset:544
	global_load_b128 v[20:23], v[35:36], off offset:528
	;; [unrolled: 1-line block ×3, first 2 shown]
	global_load_b64 v[35:36], v[35:36], off offset:576
	s_wait_loadcnt 0x3
	v_mul_f32_e32 v27, v12, v19
	s_wait_loadcnt 0x1
	v_dual_mul_f32 v37, v9, v23 :: v_dual_mul_f32 v40, v14, v32
	v_dual_mul_f32 v38, v1, v34 :: v_dual_mul_f32 v39, v6, v21
	s_wait_loadcnt 0x0
	v_mul_f32_e32 v42, v3, v36
	v_dual_mul_f32 v41, v11, v17 :: v_dual_mul_f32 v36, v2, v36
	v_dual_mul_f32 v17, v10, v17 :: v_dual_mul_f32 v32, v15, v32
	v_dual_mul_f32 v19, v13, v19 :: v_dual_fmac_f32 v38, v0, v33
	v_dual_mul_f32 v21, v7, v21 :: v_dual_mul_f32 v34, v0, v34
	v_fma_f32 v13, v13, v18, -v27
	v_mul_f32_e32 v23, v8, v23
	v_dual_fmac_f32 v37, v8, v22 :: v_dual_fmac_f32 v42, v2, v35
	v_fma_f32 v0, v7, v20, -v39
	v_fma_f32 v7, v15, v31, -v40
	;; [unrolled: 1-line block ×4, first 2 shown]
	v_dual_fmac_f32 v32, v14, v31 :: v_dual_fmac_f32 v19, v12, v18
	v_fmac_f32_e32 v41, v10, v16
	v_fma_f32 v1, v1, v33, -v34
	v_dual_sub_f32 v8, v5, v13 :: v_dual_sub_f32 v7, v0, v7
	v_add_nc_u32_e32 v16, 0x800, v30
	v_dual_sub_f32 v12, v4, v19 :: v_dual_fmac_f32 v21, v6, v20
	v_sub_f32_e32 v10, v41, v42
	v_fma_f32 v6, v9, v22, -v23
	v_sub_f32_e32 v3, v2, v3
	v_fma_f32 v18, v5, 2.0, -v8
	v_fma_f32 v19, v4, 2.0, -v12
	v_sub_f32_e32 v14, v7, v10
	v_fma_f32 v10, v41, 2.0, -v10
	v_fma_f32 v2, v2, 2.0, -v3
	v_sub_f32_e32 v1, v6, v1
	s_delay_alu instid0(VALU_DEP_1) | instskip(SKIP_2) | instid1(VALU_DEP_2)
	v_fma_f32 v5, v6, 2.0, -v1
	v_sub_f32_e32 v11, v21, v32
	v_add_f32_e32 v17, v12, v1
	v_dual_sub_f32 v20, v18, v5 :: v_dual_add_f32 v15, v11, v3
	v_sub_f32_e32 v9, v37, v38
	v_fma_f32 v6, v21, 2.0, -v11
	s_delay_alu instid0(VALU_DEP_1) | instskip(SKIP_2) | instid1(VALU_DEP_3)
	v_dual_sub_f32 v13, v8, v9 :: v_dual_sub_f32 v10, v6, v10
	v_fma_f32 v4, v37, 2.0, -v9
	v_fma_f32 v9, v0, 2.0, -v7
	;; [unrolled: 1-line block ×3, first 2 shown]
	s_delay_alu instid0(VALU_DEP_4) | instskip(SKIP_1) | instid1(VALU_DEP_4)
	v_sub_f32_e32 v3, v20, v10
	v_fma_f32 v10, v6, 2.0, -v10
	v_dual_sub_f32 v21, v19, v4 :: v_dual_sub_f32 v22, v9, v2
	v_fma_f32 v8, v7, 2.0, -v14
	s_delay_alu instid0(VALU_DEP_2) | instskip(SKIP_2) | instid1(VALU_DEP_4)
	v_add_f32_e32 v2, v21, v22
	v_fmamk_f32 v0, v15, 0x3f3504f3, v17
	v_fma_f32 v12, v12, 2.0, -v17
	v_fmamk_f32 v5, v8, 0xbf3504f3, v23
	s_delay_alu instid0(VALU_DEP_3) | instskip(SKIP_1) | instid1(VALU_DEP_2)
	v_fmac_f32_e32 v0, 0x3f3504f3, v14
	v_fma_f32 v11, v11, 2.0, -v15
	v_fma_f32 v6, v17, 2.0, -v0
	s_delay_alu instid0(VALU_DEP_2)
	v_fmamk_f32 v4, v11, 0xbf3504f3, v12
	v_fmamk_f32 v1, v14, 0x3f3504f3, v13
	v_fma_f32 v14, v18, 2.0, -v20
	v_fma_f32 v18, v19, 2.0, -v21
	v_fmac_f32_e32 v5, 0xbf3504f3, v11
	v_fmac_f32_e32 v4, 0x3f3504f3, v8
	;; [unrolled: 1-line block ×3, first 2 shown]
	v_fma_f32 v15, v9, 2.0, -v22
	v_sub_f32_e32 v10, v18, v10
	v_fma_f32 v9, v20, 2.0, -v3
	v_fma_f32 v8, v21, 2.0, -v2
	;; [unrolled: 1-line block ×3, first 2 shown]
	v_sub_f32_e32 v11, v14, v15
	v_fma_f32 v13, v23, 2.0, -v5
	v_fma_f32 v12, v12, 2.0, -v4
	v_add_nc_u32_e32 v17, 0xc00, v30
	s_delay_alu instid0(VALU_DEP_4)
	v_fma_f32 v15, v14, 2.0, -v11
	v_fma_f32 v14, v18, 2.0, -v10
	ds_store_2addr_b64 v30, v[8:9], v[6:7] offset0:154 offset1:231
	ds_store_2addr_b64 v16, v[10:11], v[4:5] offset0:52 offset1:129
	ds_store_2addr_b64 v30, v[14:15], v[12:13] offset1:77
	ds_store_2addr_b64 v17, v[2:3], v[0:1] offset0:78 offset1:155
.LBB0_19:
	s_wait_alu 0xfffe
	s_or_b32 exec_lo, exec_lo, s1
	global_wb scope:SCOPE_SE
	s_wait_dscnt 0x0
	s_barrier_signal -1
	s_barrier_wait -1
	global_inv scope:SCOPE_SE
	ds_load_b64 v[0:1], v30
	v_lshlrev_b32_e32 v2, 3, v26
	s_mov_b32 s1, exec_lo
                                        ; implicit-def: $vgpr6
                                        ; implicit-def: $vgpr5
	s_delay_alu instid0(VALU_DEP_1)
	v_sub_nc_u32_e32 v4, 0, v2
                                        ; implicit-def: $vgpr2_vgpr3
	v_cmpx_ne_u32_e32 0, v26
	s_wait_alu 0xfffe
	s_xor_b32 s1, exec_lo, s1
	s_cbranch_execz .LBB0_21
; %bb.20:
	ds_load_b64 v[5:6], v4 offset:4928
	s_wait_dscnt 0x0
	v_dual_mov_b32 v27, 0 :: v_dual_add_f32 v8, v6, v1
	s_delay_alu instid0(VALU_DEP_1) | instskip(SKIP_1) | instid1(VALU_DEP_1)
	v_lshlrev_b64_e32 v[2:3], 3, v[26:27]
	v_dual_sub_f32 v7, v0, v5 :: v_dual_add_f32 v0, v5, v0
	v_dual_sub_f32 v1, v1, v6 :: v_dual_mul_f32 v6, 0.5, v7
	s_delay_alu instid0(VALU_DEP_3) | instskip(SKIP_1) | instid1(VALU_DEP_4)
	v_add_co_u32 v2, s0, s8, v2
	s_wait_alu 0xf1ff
	v_add_co_ci_u32_e64 v3, s0, s9, v3, s0
	s_delay_alu instid0(VALU_DEP_3) | instskip(SKIP_3) | instid1(VALU_DEP_1)
	v_mul_f32_e32 v1, 0.5, v1
	global_load_b64 v[2:3], v[2:3], off offset:4840
	s_wait_loadcnt 0x0
	v_dual_mul_f32 v7, 0.5, v8 :: v_dual_mul_f32 v8, v3, v6
	v_fma_f32 v9, v7, v3, v1
	v_fma_f32 v1, v7, v3, -v1
	s_delay_alu instid0(VALU_DEP_3) | instskip(SKIP_1) | instid1(VALU_DEP_4)
	v_fma_f32 v5, 0.5, v0, v8
	v_fma_f32 v0, v0, 0.5, -v8
	v_fma_f32 v8, -v2, v6, v9
	s_delay_alu instid0(VALU_DEP_4)
	v_fma_f32 v1, -v2, v6, v1
	ds_store_b32 v30, v8 offset:4
	ds_store_b32 v4, v1 offset:4932
	v_fmac_f32_e32 v5, v2, v7
	v_fma_f32 v6, -v2, v7, v0
	v_dual_mov_b32 v2, v26 :: v_dual_mov_b32 v3, v27
                                        ; implicit-def: $vgpr0_vgpr1
.LBB0_21:
	s_wait_alu 0xfffe
	s_and_not1_saveexec_b32 s0, s1
	s_cbranch_execz .LBB0_23
; %bb.22:
	v_mov_b32_e32 v7, 0
	s_wait_dscnt 0x0
	v_add_f32_e32 v5, v0, v1
	ds_store_b32 v30, v7 offset:4
	ds_store_b32 v4, v7 offset:4932
	ds_load_b32 v2, v7 offset:2468
	v_sub_f32_e32 v6, v0, v1
	s_wait_dscnt 0x0
	v_xor_b32_e32 v8, 0x80000000, v2
	v_mov_b32_e32 v2, 0
	v_mov_b32_e32 v3, 0
	ds_store_b32 v7, v8 offset:2468
.LBB0_23:
	s_wait_alu 0xfffe
	s_or_b32 exec_lo, exec_lo, s0
	s_wait_dscnt 0x0
	v_lshlrev_b64_e32 v[0:1], 3, v[2:3]
	s_add_nc_u64 s[0:1], s[8:9], 0x12e8
	s_wait_alu 0xfffe
	s_delay_alu instid0(VALU_DEP_1) | instskip(SKIP_1) | instid1(VALU_DEP_2)
	v_add_co_u32 v0, s0, s0, v0
	s_wait_alu 0xf1ff
	v_add_co_ci_u32_e64 v1, s0, s1, v1, s0
	s_mov_b32 s1, exec_lo
	s_clause 0x1
	global_load_b64 v[2:3], v[0:1], off offset:704
	global_load_b64 v[7:8], v[0:1], off offset:1408
	ds_store_b32 v30, v5
	ds_store_b32 v4, v6 offset:4928
	ds_load_b64 v[5:6], v30 offset:704
	ds_load_b64 v[9:10], v4 offset:4224
	s_wait_dscnt 0x0
	v_dual_sub_f32 v11, v5, v9 :: v_dual_add_f32 v12, v6, v10
	v_dual_sub_f32 v6, v6, v10 :: v_dual_add_f32 v9, v5, v9
	s_delay_alu instid0(VALU_DEP_2) | instskip(SKIP_1) | instid1(VALU_DEP_1)
	v_dual_mul_f32 v10, 0.5, v11 :: v_dual_mul_f32 v11, 0.5, v12
	s_wait_loadcnt 0x1
	v_mul_f32_e32 v12, v3, v10
	s_delay_alu instid0(VALU_DEP_1) | instskip(SKIP_2) | instid1(VALU_DEP_3)
	v_fma_f32 v5, 0.5, v9, v12
	v_mul_f32_e32 v6, 0.5, v6
	v_fma_f32 v9, v9, 0.5, -v12
	v_fmac_f32_e32 v5, v2, v11
	s_delay_alu instid0(VALU_DEP_3) | instskip(SKIP_1) | instid1(VALU_DEP_2)
	v_fma_f32 v13, v11, v3, v6
	v_fma_f32 v3, v11, v3, -v6
	v_fma_f32 v6, -v2, v10, v13
	s_delay_alu instid0(VALU_DEP_2)
	v_fma_f32 v3, -v2, v10, v3
	v_fma_f32 v2, -v2, v11, v9
	ds_store_b64 v30, v[5:6] offset:704
	ds_store_b64 v4, v[2:3] offset:4224
	ds_load_b64 v[2:3], v30 offset:1408
	ds_load_b64 v[5:6], v4 offset:3520
	s_wait_dscnt 0x0
	v_dual_sub_f32 v9, v2, v5 :: v_dual_add_f32 v10, v3, v6
	s_delay_alu instid0(VALU_DEP_1) | instskip(SKIP_1) | instid1(VALU_DEP_2)
	v_dual_sub_f32 v3, v3, v6 :: v_dual_mul_f32 v6, 0.5, v9
	v_add_f32_e32 v5, v2, v5
	v_mul_f32_e32 v3, 0.5, v3
	s_delay_alu instid0(VALU_DEP_4) | instskip(SKIP_2) | instid1(VALU_DEP_2)
	v_mul_f32_e32 v9, 0.5, v10
	s_wait_loadcnt 0x0
	v_mul_f32_e32 v10, v8, v6
	v_fma_f32 v11, v9, v8, v3
	v_fma_f32 v8, v9, v8, -v3
	s_delay_alu instid0(VALU_DEP_3) | instskip(SKIP_1) | instid1(VALU_DEP_4)
	v_fma_f32 v2, 0.5, v5, v10
	v_fma_f32 v5, v5, 0.5, -v10
	v_fma_f32 v3, -v7, v6, v11
	s_delay_alu instid0(VALU_DEP_4) | instskip(NEXT) | instid1(VALU_DEP_4)
	v_fma_f32 v6, -v7, v6, v8
	v_fmac_f32_e32 v2, v7, v9
	s_delay_alu instid0(VALU_DEP_4)
	v_fma_f32 v5, -v7, v9, v5
	ds_store_b64 v30, v[2:3] offset:1408
	ds_store_b64 v4, v[5:6] offset:3520
	v_cmpx_gt_u32_e32 44, v26
	s_cbranch_execz .LBB0_25
; %bb.24:
	global_load_b64 v[0:1], v[0:1], off offset:2112
	ds_load_b64 v[2:3], v30 offset:2112
	ds_load_b64 v[5:6], v4 offset:2816
	s_wait_dscnt 0x0
	v_dual_sub_f32 v7, v2, v5 :: v_dual_add_f32 v8, v3, v6
	v_dual_sub_f32 v3, v3, v6 :: v_dual_add_f32 v2, v2, v5
	s_delay_alu instid0(VALU_DEP_2) | instskip(NEXT) | instid1(VALU_DEP_2)
	v_dual_mul_f32 v6, 0.5, v7 :: v_dual_mul_f32 v7, 0.5, v8
	v_mul_f32_e32 v3, 0.5, v3
	s_wait_loadcnt 0x0
	s_delay_alu instid0(VALU_DEP_2) | instskip(NEXT) | instid1(VALU_DEP_2)
	v_mul_f32_e32 v5, v1, v6
	v_fma_f32 v8, v7, v1, v3
	v_fma_f32 v3, v7, v1, -v3
	s_delay_alu instid0(VALU_DEP_3) | instskip(SKIP_1) | instid1(VALU_DEP_4)
	v_fma_f32 v1, 0.5, v2, v5
	v_fma_f32 v5, v2, 0.5, -v5
	v_fma_f32 v2, -v0, v6, v8
	s_delay_alu instid0(VALU_DEP_4) | instskip(NEXT) | instid1(VALU_DEP_4)
	v_fma_f32 v6, -v0, v6, v3
	v_fmac_f32_e32 v1, v0, v7
	s_delay_alu instid0(VALU_DEP_4)
	v_fma_f32 v5, -v0, v7, v5
	ds_store_b64 v30, v[1:2] offset:2112
	ds_store_b64 v4, v[5:6] offset:2816
.LBB0_25:
	s_wait_alu 0xfffe
	s_or_b32 exec_lo, exec_lo, s1
	global_wb scope:SCOPE_SE
	s_wait_dscnt 0x0
	s_barrier_signal -1
	s_barrier_wait -1
	global_inv scope:SCOPE_SE
	s_and_saveexec_b32 s0, vcc_lo
	s_cbranch_execz .LBB0_28
; %bb.26:
	v_mul_lo_u32 v2, s3, v28
	v_mul_lo_u32 v3, s2, v29
	v_mad_co_u64_u32 v[0:1], null, s2, v28, 0
	v_dual_mov_b32 v27, 0 :: v_dual_add_nc_u32 v8, 0x58, v26
	v_lshlrev_b64_e32 v[6:7], 3, v[24:25]
	v_add_nc_u32_e32 v10, 0xb0, v26
	v_lshl_add_u32 v30, v26, 3, 0
	s_delay_alu instid0(VALU_DEP_4) | instskip(SKIP_2) | instid1(VALU_DEP_4)
	v_mov_b32_e32 v9, v27
	v_add3_u32 v1, v1, v3, v2
	v_lshlrev_b64_e32 v[12:13], 3, v[26:27]
	v_dual_mov_b32 v11, v27 :: v_dual_add_nc_u32 v18, 0x400, v30
	s_delay_alu instid0(VALU_DEP_4) | instskip(NEXT) | instid1(VALU_DEP_4)
	v_lshlrev_b64_e32 v[8:9], 3, v[8:9]
	v_lshlrev_b64_e32 v[0:1], 3, v[0:1]
	v_dual_mov_b32 v21, v27 :: v_dual_add_nc_u32 v20, 0x160, v26
	s_delay_alu instid0(VALU_DEP_4) | instskip(SKIP_1) | instid1(VALU_DEP_4)
	v_lshlrev_b64_e32 v[10:11], 3, v[10:11]
	v_dual_mov_b32 v29, v27 :: v_dual_add_nc_u32 v22, 0x1b8, v26
	v_add_co_u32 v0, vcc_lo, s6, v0
	s_wait_alu 0xfffd
	v_add_co_ci_u32_e32 v1, vcc_lo, s7, v1, vcc_lo
	ds_load_2addr_b64 v[2:5], v30 offset1:88
	v_add_co_u32 v0, vcc_lo, v0, v6
	s_wait_alu 0xfffd
	v_add_co_ci_u32_e32 v1, vcc_lo, v1, v7, vcc_lo
	v_lshlrev_b64_e32 v[20:21], 3, v[20:21]
	s_delay_alu instid0(VALU_DEP_3) | instskip(SKIP_1) | instid1(VALU_DEP_3)
	v_add_co_u32 v14, vcc_lo, v0, v12
	s_wait_alu 0xfffd
	v_add_co_ci_u32_e32 v15, vcc_lo, v1, v13, vcc_lo
	v_add_co_u32 v16, vcc_lo, v0, v8
	v_dual_mov_b32 v13, v27 :: v_dual_add_nc_u32 v12, 0x108, v26
	s_wait_alu 0xfffd
	v_add_co_ci_u32_e32 v17, vcc_lo, v1, v9, vcc_lo
	ds_load_2addr_b64 v[6:9], v18 offset0:48 offset1:136
	v_add_co_u32 v18, vcc_lo, v0, v10
	s_wait_alu 0xfffd
	v_add_co_ci_u32_e32 v19, vcc_lo, v1, v11, vcc_lo
	v_lshlrev_b64_e32 v[10:11], 3, v[12:13]
	v_dual_mov_b32 v23, v27 :: v_dual_add_nc_u32 v12, 0x800, v30
	v_add_nc_u32_e32 v28, 0x210, v26
	ds_load_b64 v[30:31], v30 offset:4224
	v_add_co_u32 v24, vcc_lo, v0, v10
	v_lshlrev_b64_e32 v[22:23], 3, v[22:23]
	s_wait_alu 0xfffd
	v_add_co_ci_u32_e32 v25, vcc_lo, v1, v11, vcc_lo
	ds_load_2addr_b64 v[10:13], v12 offset0:96 offset1:184
	v_add_co_u32 v20, vcc_lo, v0, v20
	v_lshlrev_b64_e32 v[28:29], 3, v[28:29]
	s_wait_alu 0xfffd
	v_add_co_ci_u32_e32 v21, vcc_lo, v1, v21, vcc_lo
	v_add_co_u32 v22, vcc_lo, v0, v22
	s_wait_alu 0xfffd
	v_add_co_ci_u32_e32 v23, vcc_lo, v1, v23, vcc_lo
	v_add_co_u32 v28, vcc_lo, v0, v28
	s_wait_alu 0xfffd
	v_add_co_ci_u32_e32 v29, vcc_lo, v1, v29, vcc_lo
	v_cmp_eq_u32_e32 vcc_lo, 0x57, v26
	s_wait_dscnt 0x3
	s_clause 0x1
	global_store_b64 v[14:15], v[2:3], off
	global_store_b64 v[16:17], v[4:5], off
	s_wait_dscnt 0x2
	s_clause 0x1
	global_store_b64 v[18:19], v[6:7], off
	global_store_b64 v[24:25], v[8:9], off
	;; [unrolled: 4-line block ×3, first 2 shown]
	global_store_b64 v[28:29], v[30:31], off
	s_and_b32 exec_lo, exec_lo, vcc_lo
	s_cbranch_execz .LBB0_28
; %bb.27:
	ds_load_b64 v[2:3], v27 offset:4928
	s_wait_dscnt 0x0
	global_store_b64 v[0:1], v[2:3], off offset:4928
.LBB0_28:
	s_nop 0
	s_sendmsg sendmsg(MSG_DEALLOC_VGPRS)
	s_endpgm
	.section	.rodata,"a",@progbits
	.p2align	6, 0x0
	.amdhsa_kernel fft_rtc_back_len616_factors_11_7_8_wgs_88_tpt_88_sp_op_CI_CI_unitstride_sbrr_R2C_dirReg
		.amdhsa_group_segment_fixed_size 0
		.amdhsa_private_segment_fixed_size 0
		.amdhsa_kernarg_size 104
		.amdhsa_user_sgpr_count 2
		.amdhsa_user_sgpr_dispatch_ptr 0
		.amdhsa_user_sgpr_queue_ptr 0
		.amdhsa_user_sgpr_kernarg_segment_ptr 1
		.amdhsa_user_sgpr_dispatch_id 0
		.amdhsa_user_sgpr_private_segment_size 0
		.amdhsa_wavefront_size32 1
		.amdhsa_uses_dynamic_stack 0
		.amdhsa_enable_private_segment 0
		.amdhsa_system_sgpr_workgroup_id_x 1
		.amdhsa_system_sgpr_workgroup_id_y 0
		.amdhsa_system_sgpr_workgroup_id_z 0
		.amdhsa_system_sgpr_workgroup_info 0
		.amdhsa_system_vgpr_workitem_id 0
		.amdhsa_next_free_vgpr 87
		.amdhsa_next_free_sgpr 39
		.amdhsa_reserve_vcc 1
		.amdhsa_float_round_mode_32 0
		.amdhsa_float_round_mode_16_64 0
		.amdhsa_float_denorm_mode_32 3
		.amdhsa_float_denorm_mode_16_64 3
		.amdhsa_fp16_overflow 0
		.amdhsa_workgroup_processor_mode 1
		.amdhsa_memory_ordered 1
		.amdhsa_forward_progress 0
		.amdhsa_round_robin_scheduling 0
		.amdhsa_exception_fp_ieee_invalid_op 0
		.amdhsa_exception_fp_denorm_src 0
		.amdhsa_exception_fp_ieee_div_zero 0
		.amdhsa_exception_fp_ieee_overflow 0
		.amdhsa_exception_fp_ieee_underflow 0
		.amdhsa_exception_fp_ieee_inexact 0
		.amdhsa_exception_int_div_zero 0
	.end_amdhsa_kernel
	.text
.Lfunc_end0:
	.size	fft_rtc_back_len616_factors_11_7_8_wgs_88_tpt_88_sp_op_CI_CI_unitstride_sbrr_R2C_dirReg, .Lfunc_end0-fft_rtc_back_len616_factors_11_7_8_wgs_88_tpt_88_sp_op_CI_CI_unitstride_sbrr_R2C_dirReg
                                        ; -- End function
	.section	.AMDGPU.csdata,"",@progbits
; Kernel info:
; codeLenInByte = 7272
; NumSgprs: 41
; NumVgprs: 87
; ScratchSize: 0
; MemoryBound: 0
; FloatMode: 240
; IeeeMode: 1
; LDSByteSize: 0 bytes/workgroup (compile time only)
; SGPRBlocks: 5
; VGPRBlocks: 10
; NumSGPRsForWavesPerEU: 41
; NumVGPRsForWavesPerEU: 87
; Occupancy: 16
; WaveLimiterHint : 1
; COMPUTE_PGM_RSRC2:SCRATCH_EN: 0
; COMPUTE_PGM_RSRC2:USER_SGPR: 2
; COMPUTE_PGM_RSRC2:TRAP_HANDLER: 0
; COMPUTE_PGM_RSRC2:TGID_X_EN: 1
; COMPUTE_PGM_RSRC2:TGID_Y_EN: 0
; COMPUTE_PGM_RSRC2:TGID_Z_EN: 0
; COMPUTE_PGM_RSRC2:TIDIG_COMP_CNT: 0
	.text
	.p2alignl 7, 3214868480
	.fill 96, 4, 3214868480
	.type	__hip_cuid_d950e058635c1b1b,@object ; @__hip_cuid_d950e058635c1b1b
	.section	.bss,"aw",@nobits
	.globl	__hip_cuid_d950e058635c1b1b
__hip_cuid_d950e058635c1b1b:
	.byte	0                               ; 0x0
	.size	__hip_cuid_d950e058635c1b1b, 1

	.ident	"AMD clang version 19.0.0git (https://github.com/RadeonOpenCompute/llvm-project roc-6.4.0 25133 c7fe45cf4b819c5991fe208aaa96edf142730f1d)"
	.section	".note.GNU-stack","",@progbits
	.addrsig
	.addrsig_sym __hip_cuid_d950e058635c1b1b
	.amdgpu_metadata
---
amdhsa.kernels:
  - .args:
      - .actual_access:  read_only
        .address_space:  global
        .offset:         0
        .size:           8
        .value_kind:     global_buffer
      - .offset:         8
        .size:           8
        .value_kind:     by_value
      - .actual_access:  read_only
        .address_space:  global
        .offset:         16
        .size:           8
        .value_kind:     global_buffer
      - .actual_access:  read_only
        .address_space:  global
        .offset:         24
        .size:           8
        .value_kind:     global_buffer
      - .actual_access:  read_only
        .address_space:  global
        .offset:         32
        .size:           8
        .value_kind:     global_buffer
      - .offset:         40
        .size:           8
        .value_kind:     by_value
      - .actual_access:  read_only
        .address_space:  global
        .offset:         48
        .size:           8
        .value_kind:     global_buffer
      - .actual_access:  read_only
        .address_space:  global
        .offset:         56
        .size:           8
        .value_kind:     global_buffer
      - .offset:         64
        .size:           4
        .value_kind:     by_value
      - .actual_access:  read_only
        .address_space:  global
        .offset:         72
        .size:           8
        .value_kind:     global_buffer
      - .actual_access:  read_only
        .address_space:  global
        .offset:         80
        .size:           8
        .value_kind:     global_buffer
      - .actual_access:  read_only
        .address_space:  global
        .offset:         88
        .size:           8
        .value_kind:     global_buffer
      - .actual_access:  write_only
        .address_space:  global
        .offset:         96
        .size:           8
        .value_kind:     global_buffer
    .group_segment_fixed_size: 0
    .kernarg_segment_align: 8
    .kernarg_segment_size: 104
    .language:       OpenCL C
    .language_version:
      - 2
      - 0
    .max_flat_workgroup_size: 88
    .name:           fft_rtc_back_len616_factors_11_7_8_wgs_88_tpt_88_sp_op_CI_CI_unitstride_sbrr_R2C_dirReg
    .private_segment_fixed_size: 0
    .sgpr_count:     41
    .sgpr_spill_count: 0
    .symbol:         fft_rtc_back_len616_factors_11_7_8_wgs_88_tpt_88_sp_op_CI_CI_unitstride_sbrr_R2C_dirReg.kd
    .uniform_work_group_size: 1
    .uses_dynamic_stack: false
    .vgpr_count:     87
    .vgpr_spill_count: 0
    .wavefront_size: 32
    .workgroup_processor_mode: 1
amdhsa.target:   amdgcn-amd-amdhsa--gfx1201
amdhsa.version:
  - 1
  - 2
...

	.end_amdgpu_metadata
